;; amdgpu-corpus repo=ROCm/rocFFT kind=compiled arch=gfx1201 opt=O3
	.text
	.amdgcn_target "amdgcn-amd-amdhsa--gfx1201"
	.amdhsa_code_object_version 6
	.protected	bluestein_single_back_len64_dim1_half_op_CI_CI ; -- Begin function bluestein_single_back_len64_dim1_half_op_CI_CI
	.globl	bluestein_single_back_len64_dim1_half_op_CI_CI
	.p2align	8
	.type	bluestein_single_back_len64_dim1_half_op_CI_CI,@function
bluestein_single_back_len64_dim1_half_op_CI_CI: ; @bluestein_single_back_len64_dim1_half_op_CI_CI
; %bb.0:
	s_load_b128 s[16:19], s[0:1], 0x28
	v_lshrrev_b32_e32 v6, 4, v0
	v_mov_b32_e32 v2, 0
	s_mov_b32 s2, exec_lo
	s_delay_alu instid0(VALU_DEP_2) | instskip(SKIP_1) | instid1(VALU_DEP_1)
	v_lshl_or_b32 v1, ttmp9, 2, v6
	s_wait_kmcnt 0x0
	v_cmpx_gt_u64_e64 s[16:17], v[1:2]
	s_cbranch_execz .LBB0_2
; %bb.1:
	s_clause 0x1
	s_load_b128 s[4:7], s[0:1], 0x18
	s_load_b128 s[8:11], s[0:1], 0x0
	v_and_b32_e32 v10, 15, v0
	v_lshlrev_b32_e32 v19, 6, v6
	v_and_b32_e32 v0, 3, v0
	s_load_b64 s[0:1], s[0:1], 0x38
	s_wait_kmcnt 0x0
	s_load_b128 s[12:15], s[4:5], 0x0
	s_wait_kmcnt 0x0
	v_mad_co_u64_u32 v[2:3], null, s14, v1, 0
	v_mad_co_u64_u32 v[4:5], null, s12, v10, 0
	s_lshl_b64 s[2:3], s[12:13], 6
	s_delay_alu instid0(VALU_DEP_1) | instskip(NEXT) | instid1(VALU_DEP_1)
	v_mad_co_u64_u32 v[7:8], null, s15, v1, v[3:4]
	v_mov_b32_e32 v3, v7
	s_delay_alu instid0(VALU_DEP_3) | instskip(SKIP_2) | instid1(VALU_DEP_4)
	v_mad_co_u64_u32 v[8:9], null, s13, v10, v[5:6]
	v_or_b32_e32 v16, v19, v10
	v_lshlrev_b32_e32 v22, 2, v10
	v_lshlrev_b64_e32 v[2:3], 2, v[2:3]
	s_delay_alu instid0(VALU_DEP_4) | instskip(NEXT) | instid1(VALU_DEP_2)
	v_mov_b32_e32 v5, v8
	v_add_co_u32 v9, vcc_lo, s18, v2
	s_delay_alu instid0(VALU_DEP_3) | instskip(NEXT) | instid1(VALU_DEP_3)
	v_add_co_ci_u32_e32 v11, vcc_lo, s19, v3, vcc_lo
	v_lshlrev_b64_e32 v[7:8], 2, v[4:5]
	s_clause 0x3
	global_load_b32 v2, v22, s[8:9]
	global_load_b32 v3, v22, s[8:9] offset:64
	global_load_b32 v4, v22, s[8:9] offset:128
	;; [unrolled: 1-line block ×3, first 2 shown]
	v_add_co_u32 v7, vcc_lo, v9, v7
	s_wait_alu 0xfffd
	v_add_co_ci_u32_e32 v8, vcc_lo, v11, v8, vcc_lo
	s_delay_alu instid0(VALU_DEP_2) | instskip(SKIP_1) | instid1(VALU_DEP_2)
	v_add_co_u32 v11, vcc_lo, v7, s2
	s_wait_alu 0xfffd
	v_add_co_ci_u32_e32 v12, vcc_lo, s3, v8, vcc_lo
	s_clause 0x1
	global_load_b32 v13, v[7:8], off
	global_load_b32 v14, v[11:12], off
	v_add_co_u32 v7, vcc_lo, v11, s2
	s_wait_alu 0xfffd
	v_add_co_ci_u32_e32 v8, vcc_lo, s3, v12, vcc_lo
	s_delay_alu instid0(VALU_DEP_2) | instskip(SKIP_1) | instid1(VALU_DEP_2)
	v_add_co_u32 v11, vcc_lo, v7, s2
	s_wait_alu 0xfffd
	v_add_co_ci_u32_e32 v12, vcc_lo, s3, v8, vcc_lo
	s_clause 0x1
	global_load_b32 v15, v[7:8], off
	global_load_b32 v11, v[11:12], off
	s_load_b128 s[4:7], s[6:7], 0x0
	s_add_nc_u64 s[2:3], s[8:9], 0x100
	s_wait_loadcnt 0x7
	v_lshrrev_b32_e32 v6, 16, v2
	s_wait_loadcnt 0x6
	v_lshrrev_b32_e32 v7, 16, v3
	;; [unrolled: 2-line block ×5, first 2 shown]
	v_mul_f16_e32 v17, v6, v13
	s_wait_loadcnt 0x2
	v_lshrrev_b32_e32 v20, 16, v14
	s_delay_alu instid0(VALU_DEP_3) | instskip(NEXT) | instid1(VALU_DEP_3)
	v_mul_f16_e32 v18, v6, v12
	v_fma_f16 v12, v2, v12, -v17
	v_mul_f16_e32 v17, v7, v14
	s_delay_alu instid0(VALU_DEP_4) | instskip(NEXT) | instid1(VALU_DEP_4)
	v_mul_f16_e32 v21, v7, v20
	v_fmac_f16_e32 v18, v2, v13
	s_delay_alu instid0(VALU_DEP_3) | instskip(NEXT) | instid1(VALU_DEP_3)
	v_fma_f16 v17, v3, v20, -v17
	v_fmac_f16_e32 v21, v3, v14
	s_wait_loadcnt 0x1
	v_lshrrev_b32_e32 v13, 16, v15
	s_wait_loadcnt 0x0
	v_lshrrev_b32_e32 v23, 16, v11
	v_mul_f16_e32 v20, v8, v15
	v_mul_f16_e32 v25, v9, v11
	v_pack_b32_f16 v12, v18, v12
	v_mul_f16_e32 v24, v8, v13
	v_mul_f16_e32 v26, v9, v23
	v_fma_f16 v13, v4, v13, -v20
	v_fma_f16 v14, v5, v23, -v25
	v_or_b32_e32 v18, v19, v22
	v_fmac_f16_e32 v24, v4, v15
	v_fmac_f16_e32 v26, v5, v11
	v_lshlrev_b32_e32 v11, 2, v16
	v_pack_b32_f16 v15, v21, v17
	v_lshlrev_b32_e32 v23, 2, v18
	v_pack_b32_f16 v13, v24, v13
	v_pack_b32_f16 v14, v26, v14
	ds_store_2addr_b32 v11, v12, v15 offset1:16
	ds_store_2addr_b32 v11, v13, v14 offset0:32 offset1:48
	global_wb scope:SCOPE_SE
	s_wait_dscnt 0x0
	s_wait_kmcnt 0x0
	s_barrier_signal -1
	s_barrier_wait -1
	global_inv scope:SCOPE_SE
	ds_load_2addr_b32 v[12:13], v11 offset1:16
	ds_load_2addr_b32 v[14:15], v11 offset0:32 offset1:48
	global_wb scope:SCOPE_SE
	s_wait_dscnt 0x0
	s_barrier_signal -1
	s_barrier_wait -1
	global_inv scope:SCOPE_SE
	v_pk_add_f16 v15, v13, v15 neg_lo:[0,1] neg_hi:[0,1]
	v_pk_add_f16 v16, v12, v14 neg_lo:[0,1] neg_hi:[0,1]
	s_delay_alu instid0(VALU_DEP_2) | instskip(NEXT) | instid1(VALU_DEP_2)
	v_lshrrev_b32_e32 v14, 16, v15
	v_lshrrev_b32_e32 v17, 16, v16
	v_pk_fma_f16 v12, v12, 2.0, v16 op_sel_hi:[1,0,1] neg_lo:[0,0,1] neg_hi:[0,0,1]
	v_pk_fma_f16 v13, v13, 2.0, v15 op_sel_hi:[1,0,1] neg_lo:[0,0,1] neg_hi:[0,0,1]
	s_delay_alu instid0(VALU_DEP_4) | instskip(NEXT) | instid1(VALU_DEP_4)
	v_sub_f16_e32 v20, v16, v14
	v_add_f16_e32 v15, v17, v15
	s_delay_alu instid0(VALU_DEP_3) | instskip(NEXT) | instid1(VALU_DEP_3)
	v_pk_add_f16 v14, v12, v13 neg_lo:[0,1] neg_hi:[0,1]
	v_fma_f16 v13, v16, 2.0, -v20
	s_delay_alu instid0(VALU_DEP_3) | instskip(SKIP_1) | instid1(VALU_DEP_4)
	v_fma_f16 v18, v17, 2.0, -v15
	v_mad_co_u64_u32 v[16:17], null, v0, 12, s[10:11]
	v_pk_fma_f16 v12, v12, 2.0, v14 op_sel_hi:[1,0,1] neg_lo:[0,0,1] neg_hi:[0,0,1]
	v_pack_b32_f16 v15, v20, v15
	s_delay_alu instid0(VALU_DEP_4)
	v_pack_b32_f16 v13, v13, v18
	ds_store_b128 v23, v[12:15]
	global_wb scope:SCOPE_SE
	s_wait_dscnt 0x0
	s_barrier_signal -1
	s_barrier_wait -1
	global_inv scope:SCOPE_SE
	global_load_b96 v[16:18], v[16:17], off
	ds_load_2addr_b32 v[12:13], v11 offset1:16
	ds_load_2addr_b32 v[14:15], v11 offset0:32 offset1:48
	global_wb scope:SCOPE_SE
	s_wait_loadcnt_dscnt 0x0
	s_barrier_signal -1
	s_barrier_wait -1
	global_inv scope:SCOPE_SE
	v_lshrrev_b32_e32 v21, 16, v13
	v_lshrrev_b32_e32 v25, 16, v14
	;; [unrolled: 1-line block ×7, first 2 shown]
	s_delay_alu instid0(VALU_DEP_3) | instskip(SKIP_1) | instid1(VALU_DEP_4)
	v_mul_f16_e32 v29, v21, v24
	v_mul_f16_e32 v30, v13, v24
	;; [unrolled: 1-line block ×6, first 2 shown]
	v_fma_f16 v13, v13, v16, -v29
	v_fmac_f16_e32 v30, v21, v16
	v_fma_f16 v14, v14, v17, -v31
	v_fmac_f16_e32 v32, v25, v17
	v_fma_f16 v15, v15, v18, -v33
	v_fmac_f16_e32 v34, v27, v18
	v_and_b32_e32 v21, 48, v22
	v_sub_f16_e32 v14, v12, v14
	v_sub_f16_e32 v25, v20, v32
	;; [unrolled: 1-line block ×4, first 2 shown]
	v_or3_b32 v0, v21, v19, v0
	v_fma_f16 v19, v12, 2.0, -v14
	v_fma_f16 v20, v20, 2.0, -v25
	;; [unrolled: 1-line block ×4, first 2 shown]
	v_sub_f16_e32 v21, v14, v27
	v_add_f16_e32 v15, v25, v15
	v_lshlrev_b32_e32 v0, 2, v0
	v_sub_f16_e32 v27, v19, v12
	v_sub_f16_e32 v29, v20, v13
	v_fma_f16 v14, v14, 2.0, -v21
	v_fma_f16 v25, v25, 2.0, -v15
	v_mad_co_u64_u32 v[12:13], null, v10, 12, s[10:11]
	v_fma_f16 v19, v19, 2.0, -v27
	v_fma_f16 v20, v20, 2.0, -v29
	v_pack_b32_f16 v15, v21, v15
	v_pack_b32_f16 v21, v27, v29
	;; [unrolled: 1-line block ×3, first 2 shown]
	s_delay_alu instid0(VALU_DEP_4)
	v_pack_b32_f16 v19, v19, v20
	ds_store_2addr_b32 v0, v21, v15 offset0:8 offset1:12
	ds_store_2addr_b32 v0, v19, v14 offset1:4
	global_wb scope:SCOPE_SE
	s_wait_dscnt 0x0
	s_barrier_signal -1
	s_barrier_wait -1
	global_inv scope:SCOPE_SE
	global_load_b96 v[19:21], v[12:13], off offset:48
	ds_load_2addr_b32 v[12:13], v11 offset1:16
	ds_load_2addr_b32 v[14:15], v11 offset0:32 offset1:48
	s_wait_dscnt 0x1
	v_lshrrev_b32_e32 v27, 16, v13
	s_wait_dscnt 0x0
	v_lshrrev_b32_e32 v30, 16, v14
	v_lshrrev_b32_e32 v32, 16, v15
	;; [unrolled: 1-line block ×3, first 2 shown]
	s_wait_loadcnt 0x0
	v_lshrrev_b32_e32 v29, 16, v19
	v_lshrrev_b32_e32 v31, 16, v20
	;; [unrolled: 1-line block ×3, first 2 shown]
	s_delay_alu instid0(VALU_DEP_3) | instskip(SKIP_1) | instid1(VALU_DEP_4)
	v_mul_f16_e32 v34, v27, v29
	v_mul_f16_e32 v35, v13, v29
	;; [unrolled: 1-line block ×6, first 2 shown]
	v_fma_f16 v13, v13, v19, -v34
	v_fmac_f16_e32 v35, v27, v19
	v_fma_f16 v14, v14, v20, -v36
	v_fmac_f16_e32 v37, v30, v20
	;; [unrolled: 2-line block ×3, first 2 shown]
	s_delay_alu instid0(VALU_DEP_4) | instskip(NEXT) | instid1(VALU_DEP_4)
	v_sub_f16_e32 v14, v12, v14
	v_sub_f16_e32 v27, v25, v37
	s_delay_alu instid0(VALU_DEP_4) | instskip(NEXT) | instid1(VALU_DEP_4)
	v_sub_f16_e32 v15, v13, v15
	v_sub_f16_e32 v30, v35, v39
	s_delay_alu instid0(VALU_DEP_4) | instskip(NEXT) | instid1(VALU_DEP_4)
	v_fma_f16 v12, v12, 2.0, -v14
	v_fma_f16 v25, v25, 2.0, -v27
	s_delay_alu instid0(VALU_DEP_4) | instskip(NEXT) | instid1(VALU_DEP_4)
	v_fma_f16 v13, v13, 2.0, -v15
	v_fma_f16 v32, v35, 2.0, -v30
	v_sub_f16_e32 v30, v14, v30
	v_add_f16_e32 v15, v27, v15
	s_delay_alu instid0(VALU_DEP_4) | instskip(NEXT) | instid1(VALU_DEP_4)
	v_sub_f16_e32 v13, v12, v13
	v_sub_f16_e32 v32, v25, v32
	s_delay_alu instid0(VALU_DEP_4) | instskip(NEXT) | instid1(VALU_DEP_4)
	v_fma_f16 v14, v14, 2.0, -v30
	v_fma_f16 v27, v27, 2.0, -v15
	v_pack_b32_f16 v15, v30, v15
	v_fma_f16 v12, v12, 2.0, -v13
	v_fma_f16 v25, v25, 2.0, -v32
	v_pack_b32_f16 v13, v13, v32
	v_pack_b32_f16 v14, v14, v27
	s_delay_alu instid0(VALU_DEP_3)
	v_pack_b32_f16 v12, v12, v25
	ds_store_2addr_b32 v11, v12, v14 offset1:16
	ds_store_2addr_b32 v11, v13, v15 offset0:32 offset1:48
	global_wb scope:SCOPE_SE
	s_wait_dscnt 0x0
	s_barrier_signal -1
	s_barrier_wait -1
	global_inv scope:SCOPE_SE
	s_clause 0x3
	global_load_b32 v14, v22, s[8:9] offset:256
	global_load_b32 v15, v22, s[2:3] offset:64
	;; [unrolled: 1-line block ×4, first 2 shown]
	ds_load_2addr_b32 v[12:13], v11 offset1:16
	s_wait_dscnt 0x0
	v_lshrrev_b32_e32 v27, 16, v12
	v_lshrrev_b32_e32 v32, 16, v13
	s_wait_loadcnt 0x3
	v_lshrrev_b32_e32 v30, 16, v14
	s_wait_loadcnt 0x2
	v_lshrrev_b32_e32 v34, 16, v15
	s_delay_alu instid0(VALU_DEP_2) | instskip(SKIP_1) | instid1(VALU_DEP_3)
	v_mul_f16_e32 v35, v27, v30
	v_mul_f16_e32 v30, v12, v30
	;; [unrolled: 1-line block ×4, first 2 shown]
	s_delay_alu instid0(VALU_DEP_4) | instskip(NEXT) | instid1(VALU_DEP_4)
	v_fma_f16 v12, v12, v14, -v35
	v_fmac_f16_e32 v30, v27, v14
	s_delay_alu instid0(VALU_DEP_4) | instskip(NEXT) | instid1(VALU_DEP_4)
	v_fma_f16 v13, v13, v15, -v36
	v_fmac_f16_e32 v34, v32, v15
	s_wait_loadcnt 0x1
	v_lshrrev_b32_e32 v14, 16, v25
	s_wait_loadcnt 0x0
	v_lshrrev_b32_e32 v15, 16, v22
	v_pack_b32_f16 v12, v12, v30
	v_pack_b32_f16 v13, v13, v34
	ds_store_2addr_b32 v11, v12, v13 offset1:16
	ds_load_2addr_b32 v[12:13], v11 offset0:32 offset1:48
	s_wait_dscnt 0x0
	v_lshrrev_b32_e32 v27, 16, v12
	v_lshrrev_b32_e32 v30, 16, v13
	v_mul_f16_e32 v32, v12, v14
	v_mul_f16_e32 v34, v13, v15
	s_delay_alu instid0(VALU_DEP_4) | instskip(NEXT) | instid1(VALU_DEP_4)
	v_mul_f16_e32 v14, v27, v14
	v_mul_f16_e32 v15, v30, v15
	s_delay_alu instid0(VALU_DEP_4) | instskip(NEXT) | instid1(VALU_DEP_4)
	v_fmac_f16_e32 v32, v27, v25
	v_fmac_f16_e32 v34, v30, v22
	s_delay_alu instid0(VALU_DEP_4) | instskip(NEXT) | instid1(VALU_DEP_4)
	v_fma_f16 v12, v12, v25, -v14
	v_fma_f16 v13, v13, v22, -v15
	s_delay_alu instid0(VALU_DEP_2) | instskip(NEXT) | instid1(VALU_DEP_2)
	v_pack_b32_f16 v12, v12, v32
	v_pack_b32_f16 v13, v13, v34
	ds_store_2addr_b32 v11, v12, v13 offset0:32 offset1:48
	global_wb scope:SCOPE_SE
	s_wait_dscnt 0x0
	s_barrier_signal -1
	s_barrier_wait -1
	global_inv scope:SCOPE_SE
	ds_load_2addr_b32 v[12:13], v11 offset1:16
	ds_load_2addr_b32 v[14:15], v11 offset0:32 offset1:48
	global_wb scope:SCOPE_SE
	s_wait_dscnt 0x0
	s_barrier_signal -1
	s_barrier_wait -1
	global_inv scope:SCOPE_SE
	v_pk_add_f16 v15, v13, v15 neg_lo:[0,1] neg_hi:[0,1]
	v_pk_add_f16 v22, v12, v14 neg_lo:[0,1] neg_hi:[0,1]
	s_delay_alu instid0(VALU_DEP_2) | instskip(NEXT) | instid1(VALU_DEP_2)
	v_lshrrev_b32_e32 v14, 16, v15
	v_lshrrev_b32_e32 v25, 16, v22
	v_pk_fma_f16 v12, v12, 2.0, v22 op_sel_hi:[1,0,1] neg_lo:[0,0,1] neg_hi:[0,0,1]
	v_pk_fma_f16 v13, v13, 2.0, v15 op_sel_hi:[1,0,1] neg_lo:[0,0,1] neg_hi:[0,0,1]
	s_delay_alu instid0(VALU_DEP_4) | instskip(NEXT) | instid1(VALU_DEP_4)
	v_add_f16_e32 v27, v22, v14
	v_sub_f16_e32 v15, v25, v15
	s_delay_alu instid0(VALU_DEP_3) | instskip(NEXT) | instid1(VALU_DEP_3)
	v_pk_add_f16 v14, v12, v13 neg_lo:[0,1] neg_hi:[0,1]
	v_fma_f16 v13, v22, 2.0, -v27
	s_delay_alu instid0(VALU_DEP_3) | instskip(SKIP_1) | instid1(VALU_DEP_4)
	v_fma_f16 v22, v25, 2.0, -v15
	v_pack_b32_f16 v15, v27, v15
	v_pk_fma_f16 v12, v12, 2.0, v14 op_sel_hi:[1,0,1] neg_lo:[0,0,1] neg_hi:[0,0,1]
	s_delay_alu instid0(VALU_DEP_3)
	v_pack_b32_f16 v13, v13, v22
	ds_store_b128 v23, v[12:15]
	global_wb scope:SCOPE_SE
	s_wait_dscnt 0x0
	s_barrier_signal -1
	s_barrier_wait -1
	global_inv scope:SCOPE_SE
	ds_load_2addr_b32 v[12:13], v11 offset1:16
	ds_load_2addr_b32 v[14:15], v11 offset0:32 offset1:48
	global_wb scope:SCOPE_SE
	s_wait_dscnt 0x0
	s_barrier_signal -1
	s_barrier_wait -1
	global_inv scope:SCOPE_SE
	v_lshrrev_b32_e32 v23, 16, v13
	v_lshrrev_b32_e32 v25, 16, v14
	v_mul_f16_e32 v27, v24, v13
	v_lshrrev_b32_e32 v30, 16, v15
	v_mul_f16_e32 v32, v26, v14
	v_mul_f16_e32 v34, v28, v15
	v_mul_f16_e32 v24, v24, v23
	v_fma_f16 v23, v16, v23, -v27
	v_mul_f16_e32 v26, v26, v25
	v_mul_f16_e32 v27, v28, v30
	v_lshrrev_b32_e32 v22, 16, v12
	v_fma_f16 v25, v17, v25, -v32
	v_fma_f16 v28, v18, v30, -v34
	v_fmac_f16_e32 v24, v16, v13
	v_fmac_f16_e32 v26, v17, v14
	;; [unrolled: 1-line block ×3, first 2 shown]
	v_sub_f16_e32 v13, v22, v25
	v_sub_f16_e32 v14, v23, v28
	s_delay_alu instid0(VALU_DEP_4) | instskip(NEXT) | instid1(VALU_DEP_4)
	v_sub_f16_e32 v15, v12, v26
	v_sub_f16_e32 v16, v24, v27
	s_delay_alu instid0(VALU_DEP_4) | instskip(NEXT) | instid1(VALU_DEP_4)
	v_fma_f16 v17, v22, 2.0, -v13
	v_fma_f16 v18, v23, 2.0, -v14
	s_delay_alu instid0(VALU_DEP_4) | instskip(NEXT) | instid1(VALU_DEP_4)
	v_fma_f16 v12, v12, 2.0, -v15
	v_fma_f16 v22, v24, 2.0, -v16
	v_add_f16_e32 v14, v15, v14
	v_sub_f16_e32 v16, v13, v16
	v_sub_f16_e32 v18, v17, v18
	s_delay_alu instid0(VALU_DEP_4) | instskip(NEXT) | instid1(VALU_DEP_4)
	v_sub_f16_e32 v22, v12, v22
	v_fma_f16 v15, v15, 2.0, -v14
	s_delay_alu instid0(VALU_DEP_4) | instskip(NEXT) | instid1(VALU_DEP_4)
	v_fma_f16 v13, v13, 2.0, -v16
	v_fma_f16 v17, v17, 2.0, -v18
	v_pack_b32_f16 v14, v14, v16
	v_fma_f16 v12, v12, 2.0, -v22
	s_delay_alu instid0(VALU_DEP_4) | instskip(SKIP_2) | instid1(VALU_DEP_4)
	v_pack_b32_f16 v13, v15, v13
	v_pack_b32_f16 v15, v22, v18
	v_mad_co_u64_u32 v[22:23], null, s4, v10, 0
	v_pack_b32_f16 v12, v12, v17
	ds_store_2addr_b32 v0, v15, v14 offset0:8 offset1:12
	ds_store_2addr_b32 v0, v12, v13 offset1:4
	global_wb scope:SCOPE_SE
	s_wait_dscnt 0x0
	s_barrier_signal -1
	s_barrier_wait -1
	global_inv scope:SCOPE_SE
	ds_load_2addr_b32 v[12:13], v11 offset1:16
	ds_load_2addr_b32 v[14:15], v11 offset0:32 offset1:48
	v_mad_co_u64_u32 v[16:17], null, s6, v1, 0
	s_delay_alu instid0(VALU_DEP_1) | instskip(NEXT) | instid1(VALU_DEP_1)
	v_mov_b32_e32 v0, v17
	v_mad_co_u64_u32 v[0:1], null, s7, v1, v[0:1]
	s_wait_dscnt 0x1
	v_lshrrev_b32_e32 v18, 16, v13
	s_wait_dscnt 0x0
	v_lshrrev_b32_e32 v24, 16, v14
	v_mul_f16_e32 v25, v29, v13
	v_lshrrev_b32_e32 v26, 16, v15
	v_mul_f16_e32 v27, v31, v14
	v_mul_f16_e32 v28, v33, v15
	;; [unrolled: 1-line block ×3, first 2 shown]
	v_fma_f16 v18, v19, v18, -v25
	v_mul_f16_e32 v25, v31, v24
	v_mul_f16_e32 v30, v33, v26
	v_lshrrev_b32_e32 v17, 16, v12
	v_fma_f16 v24, v20, v24, -v27
	v_fma_f16 v26, v21, v26, -v28
	v_fmac_f16_e32 v29, v19, v13
	v_fmac_f16_e32 v25, v20, v14
	;; [unrolled: 1-line block ×3, first 2 shown]
	v_sub_f16_e32 v14, v17, v24
	v_sub_f16_e32 v15, v18, v26
	v_mov_b32_e32 v13, v23
	v_sub_f16_e32 v19, v12, v25
	v_sub_f16_e32 v20, v29, v30
	v_fma_f16 v1, v17, 2.0, -v14
	v_fma_f16 v17, v18, 2.0, -v15
	s_delay_alu instid0(VALU_DEP_4) | instskip(NEXT) | instid1(VALU_DEP_4)
	v_fma_f16 v18, v12, 2.0, -v19
	v_fma_f16 v21, v29, 2.0, -v20
	v_mad_co_u64_u32 v[12:13], null, s5, v10, v[13:14]
	s_delay_alu instid0(VALU_DEP_4) | instskip(SKIP_3) | instid1(VALU_DEP_4)
	v_sub_f16_e32 v10, v1, v17
	v_add_f16_e32 v13, v19, v15
	v_sub_f16_e32 v15, v14, v20
	v_sub_f16_e32 v20, v18, v21
	v_fma_f16 v1, v1, 2.0, -v10
	v_mov_b32_e32 v23, v12
	v_fma_f16 v19, v19, 2.0, -v13
	v_fma_f16 v14, v14, 2.0, -v15
	;; [unrolled: 1-line block ×3, first 2 shown]
	v_pack_b32_f16 v15, v13, v15
	v_pack_b32_f16 v10, v20, v10
	v_lshlrev_b64_e32 v[12:13], 2, v[22:23]
	v_pack_b32_f16 v14, v19, v14
	v_pack_b32_f16 v18, v18, v1
	ds_store_2addr_b32 v11, v18, v14 offset1:16
	ds_store_2addr_b32 v11, v10, v15 offset0:32 offset1:48
	global_wb scope:SCOPE_SE
	s_wait_dscnt 0x0
	s_barrier_signal -1
	s_barrier_wait -1
	global_inv scope:SCOPE_SE
	ds_load_2addr_b32 v[14:15], v11 offset1:16
	s_wait_dscnt 0x0
	v_lshrrev_b32_e32 v18, 16, v14
	v_mul_f16_e32 v19, v6, v14
	v_lshrrev_b32_e32 v20, 16, v15
	v_mul_f16_e32 v21, v7, v15
	s_delay_alu instid0(VALU_DEP_4) | instskip(NEXT) | instid1(VALU_DEP_4)
	v_mul_f16_e32 v6, v6, v18
	v_fma_f16 v18, v2, v18, -v19
	s_delay_alu instid0(VALU_DEP_4) | instskip(NEXT) | instid1(VALU_DEP_4)
	v_mul_f16_e32 v7, v7, v20
	v_fma_f16 v19, v3, v20, -v21
	s_delay_alu instid0(VALU_DEP_4) | instskip(NEXT) | instid1(VALU_DEP_4)
	v_fmac_f16_e32 v6, v2, v14
	v_mul_f16_e32 v2, 0x2400, v18
	v_mov_b32_e32 v17, v0
	v_fmac_f16_e32 v7, v3, v15
	v_mul_f16_e32 v3, 0x2400, v19
	s_delay_alu instid0(VALU_DEP_4) | instskip(NEXT) | instid1(VALU_DEP_4)
	v_lshlrev_b32_e32 v2, 16, v2
	v_lshlrev_b64_e32 v[0:1], 2, v[16:17]
	s_delay_alu instid0(VALU_DEP_3) | instskip(NEXT) | instid1(VALU_DEP_2)
	v_lshlrev_b32_e32 v3, 16, v3
	v_add_co_u32 v10, vcc_lo, s0, v0
	s_wait_alu 0xfffd
	s_delay_alu instid0(VALU_DEP_3)
	v_add_co_ci_u32_e32 v16, vcc_lo, s1, v1, vcc_lo
	ds_load_2addr_b32 v[0:1], v11 offset0:32 offset1:48
	v_add_co_u32 v10, vcc_lo, v10, v12
	s_wait_alu 0xfffd
	v_add_co_ci_u32_e32 v11, vcc_lo, v16, v13, vcc_lo
	s_lshl_b64 s[0:1], s[4:5], 6
	s_wait_alu 0xfffe
	v_add_co_u32 v12, vcc_lo, v10, s0
	s_wait_alu 0xfffd
	v_add_co_ci_u32_e32 v13, vcc_lo, s1, v11, vcc_lo
	s_delay_alu instid0(VALU_DEP_2) | instskip(SKIP_1) | instid1(VALU_DEP_2)
	v_add_co_u32 v16, vcc_lo, v12, s0
	s_wait_alu 0xfffd
	v_add_co_ci_u32_e32 v17, vcc_lo, s1, v13, vcc_lo
	s_wait_dscnt 0x0
	v_lshrrev_b32_e32 v22, 16, v0
	v_mul_f16_e32 v23, v8, v0
	v_lshrrev_b32_e32 v24, 16, v1
	v_mul_f16_e32 v25, v9, v1
	s_delay_alu instid0(VALU_DEP_4) | instskip(NEXT) | instid1(VALU_DEP_4)
	v_mul_f16_e32 v8, v8, v22
	v_fma_f16 v20, v4, v22, -v23
	s_delay_alu instid0(VALU_DEP_4) | instskip(NEXT) | instid1(VALU_DEP_4)
	v_mul_f16_e32 v9, v9, v24
	v_fma_f16 v21, v5, v24, -v25
	s_delay_alu instid0(VALU_DEP_4) | instskip(NEXT) | instid1(VALU_DEP_4)
	v_fmac_f16_e32 v8, v4, v0
	v_mul_f16_e32 v0, 0x2400, v20
	s_delay_alu instid0(VALU_DEP_4)
	v_fmac_f16_e32 v9, v5, v1
	v_mul_f16_e32 v4, 0x2400, v6
	v_mul_f16_e32 v5, 0x2400, v7
	v_mul_f16_e32 v6, 0x2400, v8
	v_mul_f16_e32 v1, 0x2400, v21
	v_lshlrev_b32_e32 v7, 16, v0
	v_mul_f16_e32 v0, 0x2400, v9
	v_and_b32_e32 v4, 0xffff, v4
	v_and_b32_e32 v5, 0xffff, v5
	;; [unrolled: 1-line block ×3, first 2 shown]
	v_lshlrev_b32_e32 v8, 16, v1
	v_and_b32_e32 v9, 0xffff, v0
	v_or_b32_e32 v2, v2, v4
	v_add_co_u32 v0, vcc_lo, v16, s0
	v_or_b32_e32 v3, v3, v5
	v_or_b32_e32 v4, v7, v6
	s_wait_alu 0xfffd
	v_add_co_ci_u32_e32 v1, vcc_lo, s1, v17, vcc_lo
	v_or_b32_e32 v5, v8, v9
	s_clause 0x3
	global_store_b32 v[10:11], v2, off
	global_store_b32 v[12:13], v3, off
	;; [unrolled: 1-line block ×4, first 2 shown]
.LBB0_2:
	s_nop 0
	s_sendmsg sendmsg(MSG_DEALLOC_VGPRS)
	s_endpgm
	.section	.rodata,"a",@progbits
	.p2align	6, 0x0
	.amdhsa_kernel bluestein_single_back_len64_dim1_half_op_CI_CI
		.amdhsa_group_segment_fixed_size 1024
		.amdhsa_private_segment_fixed_size 0
		.amdhsa_kernarg_size 104
		.amdhsa_user_sgpr_count 2
		.amdhsa_user_sgpr_dispatch_ptr 0
		.amdhsa_user_sgpr_queue_ptr 0
		.amdhsa_user_sgpr_kernarg_segment_ptr 1
		.amdhsa_user_sgpr_dispatch_id 0
		.amdhsa_user_sgpr_private_segment_size 0
		.amdhsa_wavefront_size32 1
		.amdhsa_uses_dynamic_stack 0
		.amdhsa_enable_private_segment 0
		.amdhsa_system_sgpr_workgroup_id_x 1
		.amdhsa_system_sgpr_workgroup_id_y 0
		.amdhsa_system_sgpr_workgroup_id_z 0
		.amdhsa_system_sgpr_workgroup_info 0
		.amdhsa_system_vgpr_workitem_id 0
		.amdhsa_next_free_vgpr 40
		.amdhsa_next_free_sgpr 20
		.amdhsa_reserve_vcc 1
		.amdhsa_float_round_mode_32 0
		.amdhsa_float_round_mode_16_64 0
		.amdhsa_float_denorm_mode_32 3
		.amdhsa_float_denorm_mode_16_64 3
		.amdhsa_fp16_overflow 0
		.amdhsa_workgroup_processor_mode 1
		.amdhsa_memory_ordered 1
		.amdhsa_forward_progress 0
		.amdhsa_round_robin_scheduling 0
		.amdhsa_exception_fp_ieee_invalid_op 0
		.amdhsa_exception_fp_denorm_src 0
		.amdhsa_exception_fp_ieee_div_zero 0
		.amdhsa_exception_fp_ieee_overflow 0
		.amdhsa_exception_fp_ieee_underflow 0
		.amdhsa_exception_fp_ieee_inexact 0
		.amdhsa_exception_int_div_zero 0
	.end_amdhsa_kernel
	.text
.Lfunc_end0:
	.size	bluestein_single_back_len64_dim1_half_op_CI_CI, .Lfunc_end0-bluestein_single_back_len64_dim1_half_op_CI_CI
                                        ; -- End function
	.section	.AMDGPU.csdata,"",@progbits
; Kernel info:
; codeLenInByte = 3220
; NumSgprs: 22
; NumVgprs: 40
; ScratchSize: 0
; MemoryBound: 0
; FloatMode: 240
; IeeeMode: 1
; LDSByteSize: 1024 bytes/workgroup (compile time only)
; SGPRBlocks: 2
; VGPRBlocks: 4
; NumSGPRsForWavesPerEU: 22
; NumVGPRsForWavesPerEU: 40
; Occupancy: 16
; WaveLimiterHint : 1
; COMPUTE_PGM_RSRC2:SCRATCH_EN: 0
; COMPUTE_PGM_RSRC2:USER_SGPR: 2
; COMPUTE_PGM_RSRC2:TRAP_HANDLER: 0
; COMPUTE_PGM_RSRC2:TGID_X_EN: 1
; COMPUTE_PGM_RSRC2:TGID_Y_EN: 0
; COMPUTE_PGM_RSRC2:TGID_Z_EN: 0
; COMPUTE_PGM_RSRC2:TIDIG_COMP_CNT: 0
	.text
	.p2alignl 7, 3214868480
	.fill 96, 4, 3214868480
	.type	__hip_cuid_4ae97edbfbcd29b6,@object ; @__hip_cuid_4ae97edbfbcd29b6
	.section	.bss,"aw",@nobits
	.globl	__hip_cuid_4ae97edbfbcd29b6
__hip_cuid_4ae97edbfbcd29b6:
	.byte	0                               ; 0x0
	.size	__hip_cuid_4ae97edbfbcd29b6, 1

	.ident	"AMD clang version 19.0.0git (https://github.com/RadeonOpenCompute/llvm-project roc-6.4.0 25133 c7fe45cf4b819c5991fe208aaa96edf142730f1d)"
	.section	".note.GNU-stack","",@progbits
	.addrsig
	.addrsig_sym __hip_cuid_4ae97edbfbcd29b6
	.amdgpu_metadata
---
amdhsa.kernels:
  - .args:
      - .actual_access:  read_only
        .address_space:  global
        .offset:         0
        .size:           8
        .value_kind:     global_buffer
      - .actual_access:  read_only
        .address_space:  global
        .offset:         8
        .size:           8
        .value_kind:     global_buffer
      - .actual_access:  read_only
        .address_space:  global
        .offset:         16
        .size:           8
        .value_kind:     global_buffer
      - .actual_access:  read_only
        .address_space:  global
        .offset:         24
        .size:           8
        .value_kind:     global_buffer
      - .actual_access:  read_only
        .address_space:  global
        .offset:         32
        .size:           8
        .value_kind:     global_buffer
      - .offset:         40
        .size:           8
        .value_kind:     by_value
      - .address_space:  global
        .offset:         48
        .size:           8
        .value_kind:     global_buffer
      - .address_space:  global
        .offset:         56
        .size:           8
        .value_kind:     global_buffer
      - .address_space:  global
        .offset:         64
        .size:           8
        .value_kind:     global_buffer
      - .address_space:  global
        .offset:         72
        .size:           8
        .value_kind:     global_buffer
      - .offset:         80
        .size:           4
        .value_kind:     by_value
      - .address_space:  global
        .offset:         88
        .size:           8
        .value_kind:     global_buffer
      - .address_space:  global
        .offset:         96
        .size:           8
        .value_kind:     global_buffer
    .group_segment_fixed_size: 1024
    .kernarg_segment_align: 8
    .kernarg_segment_size: 104
    .language:       OpenCL C
    .language_version:
      - 2
      - 0
    .max_flat_workgroup_size: 64
    .name:           bluestein_single_back_len64_dim1_half_op_CI_CI
    .private_segment_fixed_size: 0
    .sgpr_count:     22
    .sgpr_spill_count: 0
    .symbol:         bluestein_single_back_len64_dim1_half_op_CI_CI.kd
    .uniform_work_group_size: 1
    .uses_dynamic_stack: false
    .vgpr_count:     40
    .vgpr_spill_count: 0
    .wavefront_size: 32
    .workgroup_processor_mode: 1
amdhsa.target:   amdgcn-amd-amdhsa--gfx1201
amdhsa.version:
  - 1
  - 2
...

	.end_amdgpu_metadata
